;; amdgpu-corpus repo=ROCm/rocFFT kind=compiled arch=gfx1100 opt=O3
	.text
	.amdgcn_target "amdgcn-amd-amdhsa--gfx1100"
	.amdhsa_code_object_version 6
	.protected	fft_rtc_back_len176_factors_11_16_wgs_64_tpt_16_halfLds_dp_op_CI_CI_unitstride_sbrr_dirReg ; -- Begin function fft_rtc_back_len176_factors_11_16_wgs_64_tpt_16_halfLds_dp_op_CI_CI_unitstride_sbrr_dirReg
	.globl	fft_rtc_back_len176_factors_11_16_wgs_64_tpt_16_halfLds_dp_op_CI_CI_unitstride_sbrr_dirReg
	.p2align	8
	.type	fft_rtc_back_len176_factors_11_16_wgs_64_tpt_16_halfLds_dp_op_CI_CI_unitstride_sbrr_dirReg,@function
fft_rtc_back_len176_factors_11_16_wgs_64_tpt_16_halfLds_dp_op_CI_CI_unitstride_sbrr_dirReg: ; @fft_rtc_back_len176_factors_11_16_wgs_64_tpt_16_halfLds_dp_op_CI_CI_unitstride_sbrr_dirReg
; %bb.0:
	s_clause 0x2
	s_load_b128 s[8:11], s[0:1], 0x0
	s_load_b128 s[4:7], s[0:1], 0x58
	;; [unrolled: 1-line block ×3, first 2 shown]
	v_lshrrev_b32_e32 v44, 4, v0
	v_dual_mov_b32 v1, 0 :: v_dual_mov_b32 v4, 0
	v_mov_b32_e32 v5, 0
	s_delay_alu instid0(VALU_DEP_3) | instskip(NEXT) | instid1(VALU_DEP_3)
	v_lshl_or_b32 v6, s15, 2, v44
	v_mov_b32_e32 v7, v1
	s_waitcnt lgkmcnt(0)
	v_cmp_lt_u64_e64 s2, s[10:11], 2
	s_delay_alu instid0(VALU_DEP_1)
	s_and_b32 vcc_lo, exec_lo, s2
	s_cbranch_vccnz .LBB0_8
; %bb.1:
	s_load_b64 s[2:3], s[0:1], 0x10
	v_mov_b32_e32 v4, 0
	v_mov_b32_e32 v5, 0
	s_add_u32 s12, s18, 8
	s_addc_u32 s13, s19, 0
	s_add_u32 s14, s16, 8
	s_addc_u32 s15, s17, 0
	v_dual_mov_b32 v57, v5 :: v_dual_mov_b32 v56, v4
	s_mov_b64 s[22:23], 1
	s_waitcnt lgkmcnt(0)
	s_add_u32 s20, s2, 8
	s_addc_u32 s21, s3, 0
.LBB0_2:                                ; =>This Inner Loop Header: Depth=1
	s_load_b64 s[24:25], s[20:21], 0x0
                                        ; implicit-def: $vgpr58_vgpr59
	s_mov_b32 s2, exec_lo
	s_waitcnt lgkmcnt(0)
	v_or_b32_e32 v2, s25, v7
	s_delay_alu instid0(VALU_DEP_1)
	v_cmpx_ne_u64_e32 0, v[1:2]
	s_xor_b32 s3, exec_lo, s2
	s_cbranch_execz .LBB0_4
; %bb.3:                                ;   in Loop: Header=BB0_2 Depth=1
	v_cvt_f32_u32_e32 v2, s24
	v_cvt_f32_u32_e32 v3, s25
	s_sub_u32 s2, 0, s24
	s_subb_u32 s26, 0, s25
	s_delay_alu instid0(VALU_DEP_1) | instskip(NEXT) | instid1(VALU_DEP_1)
	v_fmac_f32_e32 v2, 0x4f800000, v3
	v_rcp_f32_e32 v2, v2
	s_waitcnt_depctr 0xfff
	v_mul_f32_e32 v2, 0x5f7ffffc, v2
	s_delay_alu instid0(VALU_DEP_1) | instskip(NEXT) | instid1(VALU_DEP_1)
	v_mul_f32_e32 v3, 0x2f800000, v2
	v_trunc_f32_e32 v3, v3
	s_delay_alu instid0(VALU_DEP_1) | instskip(SKIP_1) | instid1(VALU_DEP_2)
	v_fmac_f32_e32 v2, 0xcf800000, v3
	v_cvt_u32_f32_e32 v3, v3
	v_cvt_u32_f32_e32 v2, v2
	s_delay_alu instid0(VALU_DEP_2) | instskip(NEXT) | instid1(VALU_DEP_2)
	v_mul_lo_u32 v8, s2, v3
	v_mul_hi_u32 v9, s2, v2
	v_mul_lo_u32 v10, s26, v2
	s_delay_alu instid0(VALU_DEP_2) | instskip(SKIP_1) | instid1(VALU_DEP_2)
	v_add_nc_u32_e32 v8, v9, v8
	v_mul_lo_u32 v9, s2, v2
	v_add_nc_u32_e32 v8, v8, v10
	s_delay_alu instid0(VALU_DEP_2) | instskip(NEXT) | instid1(VALU_DEP_2)
	v_mul_hi_u32 v10, v2, v9
	v_mul_lo_u32 v11, v2, v8
	v_mul_hi_u32 v12, v2, v8
	v_mul_hi_u32 v13, v3, v9
	v_mul_lo_u32 v9, v3, v9
	v_mul_hi_u32 v14, v3, v8
	v_mul_lo_u32 v8, v3, v8
	v_add_co_u32 v10, vcc_lo, v10, v11
	v_add_co_ci_u32_e32 v11, vcc_lo, 0, v12, vcc_lo
	s_delay_alu instid0(VALU_DEP_2) | instskip(NEXT) | instid1(VALU_DEP_2)
	v_add_co_u32 v9, vcc_lo, v10, v9
	v_add_co_ci_u32_e32 v9, vcc_lo, v11, v13, vcc_lo
	v_add_co_ci_u32_e32 v10, vcc_lo, 0, v14, vcc_lo
	s_delay_alu instid0(VALU_DEP_2) | instskip(NEXT) | instid1(VALU_DEP_2)
	v_add_co_u32 v8, vcc_lo, v9, v8
	v_add_co_ci_u32_e32 v9, vcc_lo, 0, v10, vcc_lo
	s_delay_alu instid0(VALU_DEP_2) | instskip(NEXT) | instid1(VALU_DEP_2)
	v_add_co_u32 v2, vcc_lo, v2, v8
	v_add_co_ci_u32_e32 v3, vcc_lo, v3, v9, vcc_lo
	s_delay_alu instid0(VALU_DEP_2) | instskip(SKIP_1) | instid1(VALU_DEP_3)
	v_mul_hi_u32 v8, s2, v2
	v_mul_lo_u32 v10, s26, v2
	v_mul_lo_u32 v9, s2, v3
	s_delay_alu instid0(VALU_DEP_1) | instskip(SKIP_1) | instid1(VALU_DEP_2)
	v_add_nc_u32_e32 v8, v8, v9
	v_mul_lo_u32 v9, s2, v2
	v_add_nc_u32_e32 v8, v8, v10
	s_delay_alu instid0(VALU_DEP_2) | instskip(NEXT) | instid1(VALU_DEP_2)
	v_mul_hi_u32 v10, v2, v9
	v_mul_lo_u32 v11, v2, v8
	v_mul_hi_u32 v12, v2, v8
	v_mul_hi_u32 v13, v3, v9
	v_mul_lo_u32 v9, v3, v9
	v_mul_hi_u32 v14, v3, v8
	v_mul_lo_u32 v8, v3, v8
	v_add_co_u32 v10, vcc_lo, v10, v11
	v_add_co_ci_u32_e32 v11, vcc_lo, 0, v12, vcc_lo
	s_delay_alu instid0(VALU_DEP_2) | instskip(NEXT) | instid1(VALU_DEP_2)
	v_add_co_u32 v9, vcc_lo, v10, v9
	v_add_co_ci_u32_e32 v9, vcc_lo, v11, v13, vcc_lo
	v_add_co_ci_u32_e32 v10, vcc_lo, 0, v14, vcc_lo
	s_delay_alu instid0(VALU_DEP_2) | instskip(NEXT) | instid1(VALU_DEP_2)
	v_add_co_u32 v8, vcc_lo, v9, v8
	v_add_co_ci_u32_e32 v9, vcc_lo, 0, v10, vcc_lo
	s_delay_alu instid0(VALU_DEP_2) | instskip(NEXT) | instid1(VALU_DEP_2)
	v_add_co_u32 v10, vcc_lo, v2, v8
	v_add_co_ci_u32_e32 v12, vcc_lo, v3, v9, vcc_lo
	s_delay_alu instid0(VALU_DEP_2) | instskip(SKIP_1) | instid1(VALU_DEP_3)
	v_mul_hi_u32 v13, v6, v10
	v_mad_u64_u32 v[8:9], null, v7, v10, 0
	v_mad_u64_u32 v[2:3], null, v6, v12, 0
	v_mad_u64_u32 v[10:11], null, v7, v12, 0
	s_delay_alu instid0(VALU_DEP_2) | instskip(NEXT) | instid1(VALU_DEP_3)
	v_add_co_u32 v2, vcc_lo, v13, v2
	v_add_co_ci_u32_e32 v3, vcc_lo, 0, v3, vcc_lo
	s_delay_alu instid0(VALU_DEP_2) | instskip(NEXT) | instid1(VALU_DEP_2)
	v_add_co_u32 v2, vcc_lo, v2, v8
	v_add_co_ci_u32_e32 v2, vcc_lo, v3, v9, vcc_lo
	v_add_co_ci_u32_e32 v3, vcc_lo, 0, v11, vcc_lo
	s_delay_alu instid0(VALU_DEP_2) | instskip(NEXT) | instid1(VALU_DEP_2)
	v_add_co_u32 v8, vcc_lo, v2, v10
	v_add_co_ci_u32_e32 v9, vcc_lo, 0, v3, vcc_lo
	s_delay_alu instid0(VALU_DEP_2) | instskip(SKIP_1) | instid1(VALU_DEP_3)
	v_mul_lo_u32 v10, s25, v8
	v_mad_u64_u32 v[2:3], null, s24, v8, 0
	v_mul_lo_u32 v11, s24, v9
	s_delay_alu instid0(VALU_DEP_2) | instskip(NEXT) | instid1(VALU_DEP_2)
	v_sub_co_u32 v2, vcc_lo, v6, v2
	v_add3_u32 v3, v3, v11, v10
	s_delay_alu instid0(VALU_DEP_1) | instskip(NEXT) | instid1(VALU_DEP_1)
	v_sub_nc_u32_e32 v10, v7, v3
	v_subrev_co_ci_u32_e64 v10, s2, s25, v10, vcc_lo
	v_add_co_u32 v11, s2, v8, 2
	s_delay_alu instid0(VALU_DEP_1) | instskip(SKIP_3) | instid1(VALU_DEP_3)
	v_add_co_ci_u32_e64 v12, s2, 0, v9, s2
	v_sub_co_u32 v13, s2, v2, s24
	v_sub_co_ci_u32_e32 v3, vcc_lo, v7, v3, vcc_lo
	v_subrev_co_ci_u32_e64 v10, s2, 0, v10, s2
	v_cmp_le_u32_e32 vcc_lo, s24, v13
	s_delay_alu instid0(VALU_DEP_3) | instskip(SKIP_1) | instid1(VALU_DEP_4)
	v_cmp_eq_u32_e64 s2, s25, v3
	v_cndmask_b32_e64 v13, 0, -1, vcc_lo
	v_cmp_le_u32_e32 vcc_lo, s25, v10
	v_cndmask_b32_e64 v14, 0, -1, vcc_lo
	v_cmp_le_u32_e32 vcc_lo, s24, v2
	;; [unrolled: 2-line block ×3, first 2 shown]
	v_cndmask_b32_e64 v15, 0, -1, vcc_lo
	v_cmp_eq_u32_e32 vcc_lo, s25, v10
	s_delay_alu instid0(VALU_DEP_2) | instskip(SKIP_3) | instid1(VALU_DEP_3)
	v_cndmask_b32_e64 v2, v15, v2, s2
	v_cndmask_b32_e32 v10, v14, v13, vcc_lo
	v_add_co_u32 v13, vcc_lo, v8, 1
	v_add_co_ci_u32_e32 v14, vcc_lo, 0, v9, vcc_lo
	v_cmp_ne_u32_e32 vcc_lo, 0, v10
	s_delay_alu instid0(VALU_DEP_2) | instskip(SKIP_1) | instid1(VALU_DEP_2)
	v_dual_cndmask_b32 v3, v14, v12 :: v_dual_cndmask_b32 v10, v13, v11
	v_cmp_ne_u32_e32 vcc_lo, 0, v2
	v_dual_cndmask_b32 v59, v9, v3 :: v_dual_cndmask_b32 v58, v8, v10
.LBB0_4:                                ;   in Loop: Header=BB0_2 Depth=1
	s_and_not1_saveexec_b32 s2, s3
	s_cbranch_execz .LBB0_6
; %bb.5:                                ;   in Loop: Header=BB0_2 Depth=1
	v_cvt_f32_u32_e32 v2, s24
	s_sub_i32 s3, 0, s24
	v_mov_b32_e32 v59, v1
	s_delay_alu instid0(VALU_DEP_2) | instskip(SKIP_2) | instid1(VALU_DEP_1)
	v_rcp_iflag_f32_e32 v2, v2
	s_waitcnt_depctr 0xfff
	v_mul_f32_e32 v2, 0x4f7ffffe, v2
	v_cvt_u32_f32_e32 v2, v2
	s_delay_alu instid0(VALU_DEP_1) | instskip(NEXT) | instid1(VALU_DEP_1)
	v_mul_lo_u32 v3, s3, v2
	v_mul_hi_u32 v3, v2, v3
	s_delay_alu instid0(VALU_DEP_1) | instskip(NEXT) | instid1(VALU_DEP_1)
	v_add_nc_u32_e32 v2, v2, v3
	v_mul_hi_u32 v2, v6, v2
	s_delay_alu instid0(VALU_DEP_1) | instskip(SKIP_1) | instid1(VALU_DEP_2)
	v_mul_lo_u32 v3, v2, s24
	v_add_nc_u32_e32 v8, 1, v2
	v_sub_nc_u32_e32 v3, v6, v3
	s_delay_alu instid0(VALU_DEP_1) | instskip(SKIP_1) | instid1(VALU_DEP_2)
	v_subrev_nc_u32_e32 v9, s24, v3
	v_cmp_le_u32_e32 vcc_lo, s24, v3
	v_dual_cndmask_b32 v3, v3, v9 :: v_dual_cndmask_b32 v2, v2, v8
	s_delay_alu instid0(VALU_DEP_1) | instskip(NEXT) | instid1(VALU_DEP_2)
	v_cmp_le_u32_e32 vcc_lo, s24, v3
	v_add_nc_u32_e32 v8, 1, v2
	s_delay_alu instid0(VALU_DEP_1)
	v_cndmask_b32_e32 v58, v2, v8, vcc_lo
.LBB0_6:                                ;   in Loop: Header=BB0_2 Depth=1
	s_or_b32 exec_lo, exec_lo, s2
	s_delay_alu instid0(VALU_DEP_1) | instskip(NEXT) | instid1(VALU_DEP_2)
	v_mul_lo_u32 v8, v59, s24
	v_mul_lo_u32 v9, v58, s25
	s_load_b64 s[2:3], s[14:15], 0x0
	v_mad_u64_u32 v[2:3], null, v58, s24, 0
	s_load_b64 s[24:25], s[12:13], 0x0
	s_add_u32 s22, s22, 1
	s_addc_u32 s23, s23, 0
	s_add_u32 s12, s12, 8
	s_addc_u32 s13, s13, 0
	s_add_u32 s14, s14, 8
	s_delay_alu instid0(VALU_DEP_1) | instskip(SKIP_3) | instid1(VALU_DEP_2)
	v_add3_u32 v3, v3, v9, v8
	v_sub_co_u32 v8, vcc_lo, v6, v2
	s_addc_u32 s15, s15, 0
	s_add_u32 s20, s20, 8
	v_sub_co_ci_u32_e32 v6, vcc_lo, v7, v3, vcc_lo
	s_addc_u32 s21, s21, 0
	s_waitcnt lgkmcnt(0)
	s_delay_alu instid0(VALU_DEP_1)
	v_mul_lo_u32 v9, s2, v6
	v_mul_lo_u32 v10, s3, v8
	v_mad_u64_u32 v[2:3], null, s2, v8, v[4:5]
	v_mul_lo_u32 v11, s24, v6
	v_mul_lo_u32 v12, s25, v8
	v_mad_u64_u32 v[6:7], null, s24, v8, v[56:57]
	v_cmp_ge_u64_e64 s2, s[22:23], s[10:11]
	v_add3_u32 v5, v10, v3, v9
	v_mov_b32_e32 v4, v2
	s_delay_alu instid0(VALU_DEP_4)
	v_add3_u32 v57, v12, v7, v11
	v_mov_b32_e32 v56, v6
	s_and_b32 vcc_lo, exec_lo, s2
	s_cbranch_vccnz .LBB0_9
; %bb.7:                                ;   in Loop: Header=BB0_2 Depth=1
	v_dual_mov_b32 v6, v58 :: v_dual_mov_b32 v7, v59
	s_branch .LBB0_2
.LBB0_8:
	v_dual_mov_b32 v57, v5 :: v_dual_mov_b32 v56, v4
	v_dual_mov_b32 v59, v7 :: v_dual_mov_b32 v58, v6
.LBB0_9:
	s_load_b64 s[0:1], s[0:1], 0x28
	s_lshl_b64 s[10:11], s[10:11], 3
	v_and_b32_e32 v60, 15, v0
	s_add_u32 s2, s18, s10
	s_addc_u32 s3, s19, s11
	s_waitcnt lgkmcnt(0)
	v_cmp_gt_u64_e32 vcc_lo, s[0:1], v[58:59]
	v_cmp_le_u64_e64 s0, s[0:1], v[58:59]
	s_delay_alu instid0(VALU_DEP_1) | instskip(NEXT) | instid1(SALU_CYCLE_1)
	s_and_saveexec_b32 s1, s0
	s_xor_b32 s0, exec_lo, s1
; %bb.10:
	v_and_b32_e32 v60, 15, v0
                                        ; implicit-def: $vgpr4_vgpr5
; %bb.11:
	s_or_saveexec_b32 s1, s0
                                        ; implicit-def: $vgpr42_vgpr43
                                        ; implicit-def: $vgpr38_vgpr39
                                        ; implicit-def: $vgpr34_vgpr35
                                        ; implicit-def: $vgpr30_vgpr31
                                        ; implicit-def: $vgpr14_vgpr15
                                        ; implicit-def: $vgpr26_vgpr27
                                        ; implicit-def: $vgpr10_vgpr11
                                        ; implicit-def: $vgpr2_vgpr3
                                        ; implicit-def: $vgpr6_vgpr7
                                        ; implicit-def: $vgpr22_vgpr23
                                        ; implicit-def: $vgpr18_vgpr19
	s_delay_alu instid0(SALU_CYCLE_1)
	s_xor_b32 exec_lo, exec_lo, s1
	s_cbranch_execz .LBB0_13
; %bb.12:
	s_add_u32 s10, s16, s10
	s_addc_u32 s11, s17, s11
	s_load_b64 s[10:11], s[10:11], 0x0
	s_waitcnt lgkmcnt(0)
	v_mul_lo_u32 v2, s11, v58
	v_mul_lo_u32 v3, s10, v59
	v_mad_u64_u32 v[0:1], null, s10, v58, 0
	s_delay_alu instid0(VALU_DEP_1) | instskip(SKIP_2) | instid1(VALU_DEP_3)
	v_add3_u32 v1, v1, v3, v2
	v_lshlrev_b64 v[2:3], 4, v[4:5]
	v_lshlrev_b32_e32 v4, 4, v60
	v_lshlrev_b64 v[0:1], 4, v[0:1]
	s_delay_alu instid0(VALU_DEP_1) | instskip(NEXT) | instid1(VALU_DEP_1)
	v_add_co_u32 v0, s0, s4, v0
	v_add_co_ci_u32_e64 v1, s0, s5, v1, s0
	s_delay_alu instid0(VALU_DEP_2) | instskip(NEXT) | instid1(VALU_DEP_1)
	v_add_co_u32 v0, s0, v0, v2
	v_add_co_ci_u32_e64 v1, s0, v1, v3, s0
	s_delay_alu instid0(VALU_DEP_2) | instskip(NEXT) | instid1(VALU_DEP_1)
	v_add_co_u32 v0, s0, v0, v4
	v_add_co_ci_u32_e64 v1, s0, 0, v1, s0
	s_clause 0xa
	global_load_b128 v[16:19], v[0:1], off
	global_load_b128 v[40:43], v[0:1], off offset:256
	global_load_b128 v[36:39], v[0:1], off offset:512
	global_load_b128 v[32:35], v[0:1], off offset:768
	global_load_b128 v[28:31], v[0:1], off offset:1024
	global_load_b128 v[12:15], v[0:1], off offset:1280
	global_load_b128 v[20:23], v[0:1], off offset:1536
	global_load_b128 v[24:27], v[0:1], off offset:1792
	global_load_b128 v[8:11], v[0:1], off offset:2048
	global_load_b128 v[4:7], v[0:1], off offset:2304
	global_load_b128 v[0:3], v[0:1], off offset:2560
.LBB0_13:
	s_or_b32 exec_lo, exec_lo, s1
	s_waitcnt vmcnt(9)
	v_add_f64 v[45:46], v[40:41], v[16:17]
	s_waitcnt vmcnt(0)
	v_add_f64 v[47:48], v[42:43], -v[2:3]
	s_mov_b32 s28, 0xf8bb580b
	s_mov_b32 s36, 0x8eee2c13
	;; [unrolled: 1-line block ×10, first 2 shown]
	v_add_f64 v[49:50], v[38:39], -v[6:7]
	v_add_f64 v[51:52], v[40:41], v[0:1]
	s_mov_b32 s12, 0x8764f0ba
	s_mov_b32 s10, 0xd9c712b6
	;; [unrolled: 1-line block ×16, first 2 shown]
	v_add_f64 v[67:68], v[34:35], -v[10:11]
	v_add_f64 v[69:70], v[36:37], v[4:5]
	s_mov_b32 s27, 0x3fed1bb4
	s_mov_b32 s26, s36
	v_add_f64 v[89:90], v[30:31], -v[26:27]
	s_load_b64 s[2:3], s[2:3], 0x0
	v_mul_u32_u24_e32 v44, 0xb0, v44
	v_cmp_gt_u32_e64 s0, 11, v60
	v_add_f64 v[45:46], v[36:37], v[45:46]
	v_mul_f64 v[53:54], v[47:48], s[28:29]
	v_mul_f64 v[61:62], v[47:48], s[36:37]
	;; [unrolled: 1-line block ×18, first 2 shown]
	v_add_f64 v[45:46], v[32:33], v[45:46]
	v_fma_f64 v[79:80], v[51:52], s[12:13], v[53:54]
	v_fma_f64 v[53:54], v[51:52], s[12:13], -v[53:54]
	v_fma_f64 v[81:82], v[51:52], s[10:11], -v[61:62]
	v_fma_f64 v[83:84], v[51:52], s[14:15], v[63:64]
	v_fma_f64 v[63:64], v[51:52], s[14:15], -v[63:64]
	v_fma_f64 v[85:86], v[51:52], s[16:17], v[65:66]
	v_fma_f64 v[65:66], v[51:52], s[16:17], -v[65:66]
	v_fma_f64 v[87:88], v[51:52], s[4:5], -v[47:48]
	v_fma_f64 v[61:62], v[51:52], s[10:11], v[61:62]
	v_fma_f64 v[47:48], v[51:52], s[4:5], v[47:48]
	v_add_f64 v[51:52], v[32:33], v[8:9]
	v_fma_f64 v[99:100], v[69:70], s[10:11], v[71:72]
	v_fma_f64 v[71:72], v[69:70], s[10:11], -v[71:72]
	v_fma_f64 v[101:102], v[69:70], s[14:15], v[73:74]
	v_fma_f64 v[73:74], v[69:70], s[14:15], -v[73:74]
	;; [unrolled: 2-line block ×5, first 2 shown]
	v_mul_f64 v[115:116], v[89:90], s[22:23]
	v_mul_f64 v[89:90], v[89:90], s[26:27]
	v_add_f64 v[45:46], v[28:29], v[45:46]
	v_add_f64 v[69:70], v[79:80], v[16:17]
	;; [unrolled: 1-line block ×12, first 2 shown]
	v_add_f64 v[87:88], v[14:15], -v[22:23]
	v_fma_f64 v[117:118], v[51:52], s[4:5], v[91:92]
	v_fma_f64 v[91:92], v[51:52], s[4:5], -v[91:92]
	v_fma_f64 v[119:120], v[51:52], s[16:17], v[93:94]
	v_fma_f64 v[93:94], v[51:52], s[16:17], -v[93:94]
	;; [unrolled: 2-line block ×5, first 2 shown]
	v_add_f64 v[45:46], v[12:13], v[45:46]
	v_add_f64 v[67:68], v[99:100], v[69:70]
	;; [unrolled: 1-line block ×12, first 2 shown]
	v_mul_f64 v[77:78], v[87:88], s[22:23]
	v_mul_f64 v[79:80], v[87:88], s[24:25]
	;; [unrolled: 1-line block ×5, first 2 shown]
	v_fma_f64 v[87:88], v[47:48], s[14:15], v[109:110]
	v_fma_f64 v[99:100], v[47:48], s[14:15], -v[109:110]
	v_fma_f64 v[101:102], v[47:48], s[4:5], v[111:112]
	v_fma_f64 v[103:104], v[47:48], s[4:5], -v[111:112]
	;; [unrolled: 2-line block ×5, first 2 shown]
	v_add_f64 v[45:46], v[20:21], v[45:46]
	v_add_f64 v[67:68], v[117:118], v[67:68]
	;; [unrolled: 1-line block ×11, first 2 shown]
	v_fma_f64 v[65:66], v[75:76], s[16:17], v[77:78]
	v_fma_f64 v[77:78], v[75:76], s[16:17], -v[77:78]
	v_fma_f64 v[89:90], v[75:76], s[12:13], v[79:80]
	v_fma_f64 v[79:80], v[75:76], s[12:13], -v[79:80]
	;; [unrolled: 2-line block ×5, first 2 shown]
	v_add_f64 v[45:46], v[24:25], v[45:46]
	v_add_f64 v[67:68], v[87:88], v[67:68]
	v_add_f64 v[53:54], v[99:100], v[53:54]
	v_add_f64 v[69:70], v[103:104], v[69:70]
	v_add_f64 v[71:72], v[109:110], v[71:72]
	v_add_f64 v[63:64], v[111:112], v[63:64]
	v_add_f64 v[73:74], v[113:114], v[73:74]
	v_add_f64 v[47:48], v[47:48], v[49:50]
	v_add_f64 v[49:50], v[107:108], v[51:52]
	v_add_f64 v[85:86], v[101:102], v[61:62]
	v_add_f64 v[16:17], v[105:106], v[16:17]
	v_add_f64 v[45:46], v[8:9], v[45:46]
	v_add_f64 v[61:62], v[65:66], v[67:68]
	v_add_f64 v[54:55], v[77:78], v[53:54]
	v_add_f64 v[52:53], v[79:80], v[69:70]
	v_add_f64 v[65:66], v[93:94], v[71:72]
	v_add_f64 v[67:68], v[83:84], v[63:64]
	v_add_f64 v[69:70], v[95:96], v[73:74]
	v_add_f64 v[77:78], v[75:76], v[47:48]
	v_add_f64 v[63:64], v[81:82], v[49:50]
	v_add_f64 v[75:76], v[89:90], v[85:86]
	v_add_f64 v[73:74], v[91:92], v[16:17]
	v_lshlrev_b32_e32 v79, 3, v60
	v_lshlrev_b32_e32 v80, 3, v44
                                        ; implicit-def: $vgpr48_vgpr49
                                        ; implicit-def: $vgpr71_vgpr72
	v_add_f64 v[45:46], v[4:5], v[45:46]
	s_delay_alu instid0(VALU_DEP_1) | instskip(SKIP_1) | instid1(VALU_DEP_1)
	v_add_f64 v[16:17], v[0:1], v[45:46]
	v_mad_u32_u24 v46, 0x58, v60, 0
	v_lshl_add_u32 v81, v44, 3, v46
                                        ; implicit-def: $vgpr44_vgpr45
	ds_store_2addr_b64 v81, v[65:66], v[69:70] offset0:4 offset1:5
	ds_store_2addr_b64 v81, v[77:78], v[67:68] offset0:6 offset1:7
	;; [unrolled: 1-line block ×3, first 2 shown]
	ds_store_b64 v81, v[54:55] offset:80
	ds_store_2addr_b64 v81, v[75:76], v[73:74] offset0:2 offset1:3
	ds_store_2addr_b64 v81, v[16:17], v[61:62] offset1:1
	s_waitcnt lgkmcnt(0)
	s_barrier
	buffer_gl0_inv
	s_and_saveexec_b32 s1, s0
	s_cbranch_execz .LBB0_15
; %bb.14:
	v_mul_i32_i24_e32 v16, 0xffffffb0, v60
	s_delay_alu instid0(VALU_DEP_1)
	v_add3_u32 v69, v46, v16, v80
	v_add3_u32 v16, 0, v80, v79
	ds_load_2addr_b64 v[61:64], v69 offset0:11 offset1:22
	ds_load_2addr_b64 v[65:68], v69 offset0:33 offset1:44
	;; [unrolled: 1-line block ×7, first 2 shown]
	ds_load_b64 v[16:17], v16
	ds_load_b64 v[71:72], v69 offset:1320
	s_waitcnt lgkmcnt(8)
	v_dual_mov_b32 v76, v64 :: v_dual_mov_b32 v75, v63
	s_waitcnt lgkmcnt(7)
	v_dual_mov_b32 v74, v66 :: v_dual_mov_b32 v73, v65
	v_dual_mov_b32 v65, v67 :: v_dual_mov_b32 v66, v68
	s_waitcnt lgkmcnt(6)
	v_dual_mov_b32 v69, v82 :: v_dual_mov_b32 v70, v83
	s_waitcnt lgkmcnt(5)
	v_dual_mov_b32 v67, v86 :: v_dual_mov_b32 v68, v87
	v_dual_mov_b32 v63, v88 :: v_dual_mov_b32 v64, v89
	v_dual_mov_b32 v77, v84 :: v_dual_mov_b32 v78, v85
.LBB0_15:
	s_or_b32 exec_lo, exec_lo, s1
	v_add_f64 v[82:83], v[42:43], v[18:19]
	v_add_f64 v[0:1], v[40:41], -v[0:1]
	v_add_f64 v[4:5], v[36:37], -v[4:5]
	v_add_f64 v[36:37], v[42:43], v[2:3]
	v_add_f64 v[8:9], v[32:33], -v[8:9]
	v_add_f64 v[32:33], v[38:39], v[6:7]
	v_add_f64 v[24:25], v[28:29], -v[24:25]
	v_add_f64 v[12:13], v[12:13], -v[20:21]
	s_waitcnt lgkmcnt(0)
	s_barrier
	buffer_gl0_inv
	v_add_f64 v[82:83], v[38:39], v[82:83]
	v_mul_f64 v[42:43], v[0:1], s[28:29]
	v_mul_f64 v[84:85], v[0:1], s[20:21]
	;; [unrolled: 1-line block ×13, first 2 shown]
	v_add_f64 v[40:41], v[34:35], v[82:83]
	v_mul_f64 v[82:83], v[0:1], s[36:37]
	v_mul_f64 v[0:1], v[0:1], s[18:19]
	v_fma_f64 v[94:95], v[36:37], s[12:13], -v[42:43]
	v_fma_f64 v[42:43], v[36:37], s[12:13], v[42:43]
	v_fma_f64 v[98:99], v[36:37], s[14:15], -v[84:85]
	v_fma_f64 v[84:85], v[36:37], s[14:15], v[84:85]
	;; [unrolled: 2-line block ×3, first 2 shown]
	v_add_f64 v[34:35], v[34:35], v[10:11]
	v_fma_f64 v[108:109], v[32:33], s[10:11], -v[38:39]
	v_fma_f64 v[38:39], v[32:33], s[10:11], v[38:39]
	v_fma_f64 v[110:111], v[32:33], s[14:15], -v[88:89]
	v_fma_f64 v[88:89], v[32:33], s[14:15], v[88:89]
	;; [unrolled: 2-line block ×5, first 2 shown]
	v_add_f64 v[40:41], v[30:31], v[40:41]
	v_fma_f64 v[96:97], v[36:37], s[10:11], v[82:83]
	v_fma_f64 v[102:103], v[36:37], s[4:5], v[0:1]
	v_fma_f64 v[82:83], v[36:37], s[10:11], -v[82:83]
	v_fma_f64 v[0:1], v[36:37], s[4:5], -v[0:1]
	v_mul_f64 v[36:37], v[8:9], s[34:35]
	v_mul_f64 v[8:9], v[8:9], s[20:21]
	v_add_f64 v[32:33], v[94:95], v[18:19]
	v_add_f64 v[42:43], v[42:43], v[18:19]
	;; [unrolled: 1-line block ×4, first 2 shown]
	v_fma_f64 v[120:121], v[34:35], s[4:5], -v[28:29]
	v_fma_f64 v[28:29], v[34:35], s[4:5], v[28:29]
	v_fma_f64 v[124:125], v[34:35], s[10:11], -v[104:105]
	v_fma_f64 v[104:105], v[34:35], s[10:11], v[104:105]
	;; [unrolled: 2-line block ×3, first 2 shown]
	v_add_f64 v[40:41], v[14:15], v[40:41]
	v_add_f64 v[94:95], v[96:97], v[18:19]
	;; [unrolled: 1-line block ×8, first 2 shown]
	v_mul_f64 v[30:31], v[24:25], s[30:31]
	v_mul_f64 v[102:103], v[24:25], s[28:29]
	;; [unrolled: 1-line block ×3, first 2 shown]
	v_fma_f64 v[122:123], v[34:35], s[16:17], -v[36:37]
	v_fma_f64 v[36:37], v[34:35], s[16:17], v[36:37]
	v_fma_f64 v[128:129], v[34:35], s[14:15], -v[8:9]
	v_fma_f64 v[8:9], v[34:35], s[14:15], v[8:9]
	v_add_f64 v[32:33], v[108:109], v[32:33]
	v_add_f64 v[34:35], v[38:39], v[42:43]
	;; [unrolled: 1-line block ×5, first 2 shown]
	v_mul_f64 v[92:93], v[12:13], s[26:27]
	v_add_f64 v[40:41], v[22:23], v[40:41]
	v_add_f64 v[38:39], v[88:89], v[94:95]
	;; [unrolled: 1-line block ×7, first 2 shown]
	v_mul_f64 v[22:23], v[12:13], s[22:23]
	v_mul_f64 v[90:91], v[12:13], s[20:21]
	v_fma_f64 v[94:95], v[18:19], s[14:15], -v[20:21]
	v_fma_f64 v[20:21], v[18:19], s[14:15], v[20:21]
	v_fma_f64 v[96:97], v[18:19], s[4:5], -v[30:31]
	v_fma_f64 v[30:31], v[18:19], s[4:5], v[30:31]
	;; [unrolled: 2-line block ×5, first 2 shown]
	v_add_f64 v[24:25], v[120:121], v[32:33]
	v_add_f64 v[28:29], v[28:29], v[34:35]
	v_add_f64 v[4:5], v[8:9], v[4:5]
	v_add_f64 v[26:27], v[26:27], v[40:41]
	v_mul_f64 v[40:41], v[12:13], s[24:25]
	v_mul_f64 v[12:13], v[12:13], s[18:19]
	v_add_f64 v[32:33], v[36:37], v[38:39]
	v_add_f64 v[34:35], v[126:127], v[42:43]
	;; [unrolled: 1-line block ×7, first 2 shown]
	v_fma_f64 v[84:85], v[14:15], s[14:15], -v[90:91]
	v_fma_f64 v[86:87], v[14:15], s[14:15], v[90:91]
	v_fma_f64 v[88:89], v[14:15], s[10:11], -v[92:93]
	v_fma_f64 v[90:91], v[14:15], s[10:11], v[92:93]
	v_add_f64 v[20:21], v[20:21], v[28:29]
	v_add_f64 v[4:5], v[18:19], v[4:5]
	;; [unrolled: 1-line block ×3, first 2 shown]
	v_fma_f64 v[26:27], v[14:15], s[16:17], -v[22:23]
	v_fma_f64 v[22:23], v[14:15], s[16:17], v[22:23]
	v_fma_f64 v[82:83], v[14:15], s[12:13], -v[40:41]
	v_fma_f64 v[40:41], v[14:15], s[12:13], v[40:41]
	;; [unrolled: 2-line block ×3, first 2 shown]
	v_add_f64 v[14:15], v[94:95], v[24:25]
	v_add_f64 v[24:25], v[30:31], v[32:33]
	v_add_f64 v[28:29], v[102:103], v[34:35]
	v_add_f64 v[30:31], v[108:109], v[36:37]
	v_add_f64 v[32:33], v[110:111], v[38:39]
	v_add_f64 v[8:9], v[100:101], v[8:9]
	v_add_f64 v[34:35], v[96:97], v[42:43]
	v_add_f64 v[0:1], v[98:99], v[0:1]
	v_add_f64 v[6:7], v[6:7], v[10:11]
	v_add_f64 v[10:11], v[22:23], v[20:21]
	v_add_f64 v[26:27], v[26:27], v[14:15]
	v_add_f64 v[24:25], v[40:41], v[24:25]
	v_add_f64 v[14:15], v[88:89], v[28:29]
	v_add_f64 v[22:23], v[90:91], v[30:31]
	v_add_f64 v[20:21], v[92:93], v[32:33]
	v_add_f64 v[30:31], v[12:13], v[4:5]
	v_add_f64 v[18:19], v[86:87], v[8:9]
	v_add_f64 v[34:35], v[82:83], v[34:35]
	v_add_f64 v[32:33], v[84:85], v[0:1]
                                        ; implicit-def: $vgpr0_vgpr1
                                        ; implicit-def: $vgpr4_vgpr5
                                        ; implicit-def: $vgpr28_vgpr29
	v_add_f64 v[12:13], v[2:3], v[6:7]
	ds_store_2addr_b64 v81, v[14:15], v[20:21] offset0:4 offset1:5
	ds_store_2addr_b64 v81, v[30:31], v[22:23] offset0:6 offset1:7
	;; [unrolled: 1-line block ×3, first 2 shown]
	ds_store_b64 v81, v[10:11] offset:80
	ds_store_2addr_b64 v81, v[12:13], v[26:27] offset1:1
	ds_store_2addr_b64 v81, v[34:35], v[32:33] offset0:2 offset1:3
	s_waitcnt lgkmcnt(0)
	s_barrier
	buffer_gl0_inv
	s_and_saveexec_b32 s1, s0
	s_cbranch_execz .LBB0_17
; %bb.16:
	v_add3_u32 v14, 0, v79, v80
	v_add3_u32 v12, 0, v80, v79
	ds_load_2addr_b64 v[20:23], v14 offset0:77 offset1:88
	ds_load_2addr_b64 v[8:11], v14 offset0:99 offset1:110
	ds_load_2addr_b64 v[32:35], v14 offset0:55 offset1:66
	ds_load_2addr_b64 v[36:39], v14 offset0:33 offset1:44
	ds_load_2addr_b64 v[40:43], v14 offset0:11 offset1:22
	ds_load_2addr_b64 v[0:3], v14 offset0:121 offset1:132
	ds_load_2addr_b64 v[4:7], v14 offset0:143 offset1:154
	ds_load_b64 v[12:13], v12
	ds_load_b64 v[28:29], v14 offset:1320
	s_waitcnt lgkmcnt(4)
	v_dual_mov_b32 v26, v40 :: v_dual_mov_b32 v27, v41
	v_dual_mov_b32 v18, v22 :: v_dual_mov_b32 v19, v23
	;; [unrolled: 1-line block ×9, first 2 shown]
.LBB0_17:
	s_or_b32 exec_lo, exec_lo, s1
	v_cmp_gt_u32_e64 s1, 11, v60
	s_delay_alu instid0(VALU_DEP_1) | instskip(NEXT) | instid1(SALU_CYCLE_1)
	s_and_b32 s1, vcc_lo, s1
	s_and_saveexec_b32 s4, s1
	s_cbranch_execz .LBB0_19
; %bb.18:
	v_dual_mov_b32 v9, 0 :: v_dual_add_nc_u32 v8, -11, v60
	s_mov_b32 s5, 0xbfe6a09e
	s_mov_b32 s10, 0xa6aea964
	;; [unrolled: 1-line block ×3, first 2 shown]
	s_delay_alu instid0(VALU_DEP_1)
	v_cndmask_b32_e64 v8, v8, v60, s0
	s_mov_b32 s0, 0x667f3bcd
	s_mov_b32 s1, 0x3fe6a09e
	;; [unrolled: 1-line block ×4, first 2 shown]
	v_mul_i32_i24_e32 v8, 15, v8
	s_mov_b32 s12, s10
	s_mov_b32 s15, 0xbfed906b
	v_lshlrev_b64 v[56:57], 4, v[56:57]
	s_delay_alu instid0(VALU_DEP_2) | instskip(SKIP_1) | instid1(VALU_DEP_2)
	v_lshlrev_b64 v[36:37], 4, v[8:9]
	v_mul_lo_u32 v8, s3, v58
	v_add_co_u32 v127, vcc_lo, s8, v36
	s_delay_alu instid0(VALU_DEP_3)
	v_add_co_ci_u32_e32 v128, vcc_lo, s9, v37, vcc_lo
	s_mov_b32 s8, 0xcf328d46
	s_mov_b32 s9, 0x3fed906b
	s_mov_b32 s14, s8
	s_clause 0xe
	global_load_b128 v[36:39], v[127:128], off offset:144
	global_load_b128 v[40:43], v[127:128], off offset:16
	;; [unrolled: 1-line block ×6, first 2 shown]
	global_load_b128 v[95:98], v[127:128], off
	global_load_b128 v[99:102], v[127:128], off offset:128
	global_load_b128 v[103:106], v[127:128], off offset:64
	;; [unrolled: 1-line block ×8, first 2 shown]
	s_waitcnt vmcnt(14)
	v_mul_f64 v[131:132], v[54:55], v[38:39]
	v_mul_f64 v[38:39], v[10:11], v[38:39]
	s_waitcnt vmcnt(4)
	v_mul_f64 v[133:134], v[22:23], v[113:114]
	s_waitcnt vmcnt(0) lgkmcnt(0)
	v_mul_f64 v[135:136], v[28:29], v[129:130]
	s_delay_alu instid0(VALU_DEP_4)
	v_fma_f64 v[10:11], v[10:11], v[36:37], -v[131:132]
	v_mul_f64 v[131:132], v[75:76], v[42:43]
	v_mul_f64 v[42:43], v[34:35], v[42:43]
	v_fma_f64 v[36:37], v[54:55], v[36:37], v[38:39]
	v_mul_f64 v[38:39], v[30:31], v[81:82]
	v_mul_f64 v[54:55], v[77:78], v[81:82]
	;; [unrolled: 1-line block ×4, first 2 shown]
	v_fma_f64 v[34:35], v[34:35], v[40:41], -v[131:132]
	v_mul_f64 v[131:132], v[6:7], v[89:90]
	v_fma_f64 v[40:41], v[75:76], v[40:41], v[42:43]
	v_mul_f64 v[42:43], v[50:51], v[89:90]
	v_mul_f64 v[75:76], v[4:5], v[93:94]
	;; [unrolled: 1-line block ×3, first 2 shown]
	v_fma_f64 v[38:39], v[77:78], v[79:80], v[38:39]
	v_mul_f64 v[77:78], v[52:53], v[101:102]
	v_fma_f64 v[30:31], v[30:31], v[79:80], -v[54:55]
	v_mul_f64 v[54:55], v[20:21], v[105:106]
	v_mul_f64 v[79:80], v[14:15], v[109:110]
	v_fma_f64 v[32:33], v[32:33], v[83:84], -v[81:82]
	v_mul_f64 v[81:82], v[63:64], v[117:118]
	v_fma_f64 v[73:74], v[73:74], v[83:84], v[85:86]
	v_mul_f64 v[83:84], v[2:3], v[121:122]
	v_mul_f64 v[85:86], v[44:45], v[125:126]
	v_add_f64 v[10:11], v[34:35], -v[10:11]
	v_fma_f64 v[50:51], v[50:51], v[87:88], v[131:132]
	v_add_f64 v[36:37], v[40:41], -v[36:37]
	v_fma_f64 v[6:7], v[6:7], v[87:88], -v[42:43]
	v_mul_f64 v[42:43], v[0:1], v[125:126]
	v_mul_f64 v[87:88], v[67:68], v[113:114]
	v_fma_f64 v[75:76], v[48:49], v[91:92], v[75:76]
	v_mul_f64 v[48:49], v[48:49], v[93:94]
	v_mul_f64 v[93:94], v[71:72], v[129:130]
	v_fma_f64 v[89:90], v[26:27], v[95:96], -v[89:90]
	v_mul_f64 v[26:27], v[26:27], v[97:98]
	v_fma_f64 v[77:78], v[24:25], v[99:100], -v[77:78]
	v_mul_f64 v[24:25], v[24:25], v[101:102]
	v_fma_f64 v[54:55], v[69:70], v[103:104], v[54:55]
	v_mul_f64 v[69:70], v[69:70], v[105:106]
	v_fma_f64 v[79:80], v[65:66], v[107:108], v[79:80]
	v_mul_f64 v[65:66], v[65:66], v[109:110]
	v_mul_f64 v[97:98], v[46:47], v[121:122]
	v_fma_f64 v[81:82], v[18:19], v[115:116], -v[81:82]
	v_mul_f64 v[18:19], v[18:19], v[117:118]
	v_fma_f64 v[67:68], v[67:68], v[111:112], v[133:134]
	v_fma_f64 v[46:47], v[46:47], v[119:120], v[83:84]
	v_fma_f64 v[0:1], v[0:1], v[123:124], -v[85:86]
	v_fma_f64 v[71:72], v[71:72], v[127:128], v[135:136]
	v_fma_f64 v[34:35], v[34:35], 2.0, -v[10:11]
	v_add_f64 v[6:7], v[30:31], -v[6:7]
	v_fma_f64 v[42:43], v[44:45], v[123:124], v[42:43]
	v_fma_f64 v[22:23], v[22:23], v[111:112], -v[87:88]
	v_add_f64 v[44:45], v[38:39], -v[50:51]
	v_fma_f64 v[4:5], v[4:5], v[91:92], -v[48:49]
	v_fma_f64 v[28:29], v[28:29], v[127:128], -v[93:94]
	v_fma_f64 v[26:27], v[61:62], v[95:96], v[26:27]
	v_add_f64 v[50:51], v[89:90], -v[77:78]
	v_fma_f64 v[24:25], v[52:53], v[99:100], v[24:25]
	v_add_f64 v[52:53], v[54:55], -v[75:76]
	v_fma_f64 v[20:21], v[20:21], v[103:104], -v[69:70]
	v_fma_f64 v[14:15], v[14:15], v[107:108], -v[65:66]
	;; [unrolled: 1-line block ×3, first 2 shown]
	v_add_f64 v[48:49], v[12:13], -v[81:82]
	v_fma_f64 v[18:19], v[63:64], v[115:116], v[18:19]
	v_add_f64 v[46:47], v[79:80], -v[46:47]
	v_add_f64 v[0:1], v[32:33], -v[0:1]
	;; [unrolled: 1-line block ×3, first 2 shown]
	v_add_f64 v[69:70], v[36:37], v[6:7]
	v_add_f64 v[42:43], v[73:74], -v[42:43]
	v_fma_f64 v[6:7], v[30:31], 2.0, -v[6:7]
	v_add_f64 v[65:66], v[10:11], -v[44:45]
	v_fma_f64 v[38:39], v[38:39], 2.0, -v[44:45]
	v_add_f64 v[28:29], v[22:23], -v[28:29]
	v_add_f64 v[24:25], v[26:27], -v[24:25]
	;; [unrolled: 1-line block ×4, first 2 shown]
	v_fma_f64 v[30:31], v[54:55], 2.0, -v[52:53]
	v_fma_f64 v[52:53], v[89:90], 2.0, -v[50:51]
	v_add_f64 v[2:3], v[14:15], -v[2:3]
	v_fma_f64 v[12:13], v[12:13], 2.0, -v[48:49]
	v_add_f64 v[18:19], v[16:17], -v[18:19]
	v_add_f64 v[63:64], v[48:49], -v[46:47]
	;; [unrolled: 1-line block ×3, first 2 shown]
	v_fma_f64 v[44:45], v[67:68], 2.0, -v[61:62]
	v_add_f64 v[6:7], v[34:35], -v[6:7]
	v_fma_f64 v[10:11], v[10:11], 2.0, -v[65:66]
	v_add_f64 v[77:78], v[42:43], v[28:29]
	v_fma_f64 v[22:23], v[22:23], 2.0, -v[28:29]
	v_fma_f64 v[28:29], v[79:80], 2.0, -v[46:47]
	;; [unrolled: 1-line block ×4, first 2 shown]
	v_add_f64 v[81:82], v[24:25], v[4:5]
	v_fma_f64 v[4:5], v[20:21], 2.0, -v[4:5]
	v_fma_f64 v[20:21], v[32:33], 2.0, -v[0:1]
	v_add_f64 v[83:84], v[18:19], v[2:3]
	v_fma_f64 v[2:3], v[14:15], 2.0, -v[2:3]
	v_fma_f64 v[14:15], v[40:41], 2.0, -v[36:37]
	v_fma_f64 v[40:41], v[73:74], 2.0, -v[42:43]
	v_fma_f64 v[16:17], v[16:17], 2.0, -v[18:19]
	v_fma_f64 v[32:33], v[48:49], 2.0, -v[63:64]
	v_fma_f64 v[36:37], v[36:37], 2.0, -v[69:70]
	v_fma_f64 v[0:1], v[0:1], 2.0, -v[75:76]
	v_fma_f64 v[48:49], v[65:66], s[0:1], v[63:64]
	v_fma_f64 v[50:51], v[75:76], s[0:1], v[71:72]
	v_fma_f64 v[34:35], v[34:35], 2.0, -v[6:7]
	v_fma_f64 v[42:43], v[42:43], 2.0, -v[77:78]
	v_add_f64 v[30:31], v[26:27], -v[30:31]
	v_fma_f64 v[24:25], v[24:25], 2.0, -v[81:82]
	v_fma_f64 v[54:55], v[77:78], s[0:1], v[81:82]
	v_add_f64 v[4:5], v[52:53], -v[4:5]
	v_add_f64 v[22:23], v[20:21], -v[22:23]
	v_fma_f64 v[18:19], v[18:19], 2.0, -v[83:84]
	v_add_f64 v[2:3], v[12:13], -v[2:3]
	v_fma_f64 v[61:62], v[69:70], s[0:1], v[83:84]
	v_add_f64 v[44:45], v[40:41], -v[44:45]
	v_add_f64 v[38:39], v[14:15], -v[38:39]
	;; [unrolled: 1-line block ×3, first 2 shown]
	v_fma_f64 v[67:68], v[10:11], s[4:5], v[32:33]
	v_fma_f64 v[73:74], v[0:1], s[4:5], v[46:47]
	;; [unrolled: 1-line block ×4, first 2 shown]
	v_fma_f64 v[26:27], v[26:27], 2.0, -v[30:31]
	v_fma_f64 v[79:80], v[42:43], s[4:5], v[24:25]
	v_fma_f64 v[54:55], v[75:76], s[0:1], v[54:55]
	v_add_f64 v[69:70], v[30:31], v[22:23]
	v_fma_f64 v[20:21], v[20:21], 2.0, -v[22:23]
	v_fma_f64 v[85:86], v[36:37], s[4:5], v[18:19]
	v_fma_f64 v[12:13], v[12:13], 2.0, -v[2:3]
	v_fma_f64 v[61:62], v[65:66], s[0:1], v[61:62]
	v_fma_f64 v[40:41], v[40:41], 2.0, -v[44:45]
	v_add_f64 v[65:66], v[2:3], -v[38:39]
	v_add_f64 v[44:45], v[4:5], -v[44:45]
	v_add_f64 v[75:76], v[6:7], v[28:29]
	v_fma_f64 v[6:7], v[16:17], 2.0, -v[28:29]
	v_fma_f64 v[14:15], v[14:15], 2.0, -v[38:39]
	;; [unrolled: 1-line block ×3, first 2 shown]
	v_fma_f64 v[67:68], v[36:37], s[4:5], v[67:68]
	v_fma_f64 v[22:23], v[42:43], s[4:5], v[73:74]
	v_fma_f64 v[52:53], v[63:64], 2.0, -v[48:49]
	v_fma_f64 v[36:37], v[0:1], s[0:1], v[79:80]
	v_fma_f64 v[38:39], v[81:82], 2.0, -v[54:55]
	;; [unrolled: 2-line block ×3, first 2 shown]
	v_fma_f64 v[73:74], v[10:11], s[0:1], v[85:86]
	v_add_f64 v[42:43], v[12:13], -v[34:35]
	v_fma_f64 v[34:35], v[71:72], 2.0, -v[50:51]
	v_add_f64 v[10:11], v[26:27], -v[40:41]
	v_fma_f64 v[63:64], v[2:3], 2.0, -v[65:66]
	v_fma_f64 v[40:41], v[4:5], 2.0, -v[44:45]
	;; [unrolled: 1-line block ×4, first 2 shown]
	v_add_f64 v[79:80], v[6:7], -v[14:15]
	v_add_f64 v[14:15], v[16:17], -v[20:21]
	v_fma_f64 v[81:82], v[32:33], 2.0, -v[67:68]
	v_fma_f64 v[46:47], v[46:47], 2.0, -v[22:23]
	v_fma_f64 v[4:5], v[44:45], s[0:1], v[65:66]
	v_fma_f64 v[20:21], v[54:55], s[8:9], v[61:62]
	v_fma_f64 v[32:33], v[24:25], 2.0, -v[36:37]
	v_fma_f64 v[24:25], v[22:23], s[12:13], v[67:68]
	v_fma_f64 v[2:3], v[54:55], s[10:11], v[0:1]
	v_mad_u64_u32 v[54:55], null, s2, v58, 0
	v_fma_f64 v[83:84], v[18:19], 2.0, -v[73:74]
	v_fma_f64 v[18:19], v[69:70], s[0:1], v[75:76]
	v_fma_f64 v[85:86], v[34:35], s[10:11], v[52:53]
	;; [unrolled: 1-line block ×3, first 2 shown]
	v_fma_f64 v[93:94], v[12:13], 2.0, -v[42:43]
	v_fma_f64 v[87:88], v[40:41], s[4:5], v[63:64]
	v_fma_f64 v[89:90], v[30:31], s[4:5], v[71:72]
	v_fma_f64 v[91:92], v[38:39], s[10:11], v[77:78]
	v_fma_f64 v[97:98], v[6:7], 2.0, -v[79:80]
	v_fma_f64 v[95:96], v[16:17], 2.0, -v[14:15]
	;; [unrolled: 1-line block ×3, first 2 shown]
	v_fma_f64 v[99:100], v[46:47], s[14:15], v[81:82]
	v_fma_f64 v[6:7], v[69:70], s[4:5], v[4:5]
	;; [unrolled: 1-line block ×3, first 2 shown]
	v_add_f64 v[12:13], v[42:43], -v[10:11]
	v_add_f64 v[10:11], v[79:80], v[14:15]
	v_fma_f64 v[24:25], v[36:37], s[14:15], v[24:25]
	v_fma_f64 v[36:37], v[48:49], 2.0, -v[2:3]
	v_fma_f64 v[101:102], v[32:33], s[14:15], v[83:84]
	v_fma_f64 v[4:5], v[44:45], s[0:1], v[18:19]
	v_fma_f64 v[16:17], v[38:39], s[14:15], v[85:86]
	v_fma_f64 v[22:23], v[22:23], s[8:9], v[28:29]
	v_fma_f64 v[20:21], v[30:31], s[4:5], v[87:88]
	v_fma_f64 v[18:19], v[40:41], s[0:1], v[89:90]
	v_fma_f64 v[14:15], v[34:35], s[8:9], v[91:92]
	v_mul_lo_u32 v34, s2, v59
	v_add_f64 v[28:29], v[93:94], -v[95:96]
	v_add_f64 v[26:27], v[97:98], -v[26:27]
	v_fma_f64 v[32:33], v[32:33], s[10:11], v[99:100]
	v_fma_f64 v[40:41], v[65:66], 2.0, -v[6:7]
	v_fma_f64 v[44:45], v[42:43], 2.0, -v[12:13]
	;; [unrolled: 1-line block ×3, first 2 shown]
	v_add3_u32 v55, v55, v34, v8
	v_fma_f64 v[34:35], v[61:62], 2.0, -v[0:1]
	v_mov_b32_e32 v61, v9
	s_delay_alu instid0(VALU_DEP_3) | instskip(NEXT) | instid1(VALU_DEP_2)
	v_lshlrev_b64 v[54:55], 4, v[54:55]
	v_lshlrev_b64 v[8:9], 4, v[60:61]
	s_delay_alu instid0(VALU_DEP_2) | instskip(NEXT) | instid1(VALU_DEP_3)
	v_add_co_u32 v54, vcc_lo, s6, v54
	v_add_co_ci_u32_e32 v55, vcc_lo, s7, v55, vcc_lo
	s_delay_alu instid0(VALU_DEP_2) | instskip(NEXT) | instid1(VALU_DEP_2)
	v_add_co_u32 v54, vcc_lo, v54, v56
	v_add_co_ci_u32_e32 v55, vcc_lo, v55, v57, vcc_lo
	s_delay_alu instid0(VALU_DEP_2)
	v_add_co_u32 v8, vcc_lo, v54, v8
	v_fma_f64 v[30:31], v[46:47], s[12:13], v[101:102]
	v_fma_f64 v[38:39], v[75:76], 2.0, -v[4:5]
	v_fma_f64 v[48:49], v[52:53], 2.0, -v[16:17]
	v_add_co_ci_u32_e32 v9, vcc_lo, v55, v9, vcc_lo
	v_fma_f64 v[52:53], v[63:64], 2.0, -v[20:21]
	v_fma_f64 v[50:51], v[71:72], 2.0, -v[18:19]
	;; [unrolled: 1-line block ×9, first 2 shown]
	s_clause 0xf
	global_store_b128 v[8:9], v[38:41], off offset:1056
	global_store_b128 v[8:9], v[34:37], off offset:1232
	;; [unrolled: 1-line block ×12, first 2 shown]
	global_store_b128 v[8:9], v[66:69], off
	global_store_b128 v[8:9], v[70:73], off offset:176
	global_store_b128 v[8:9], v[4:7], off offset:2464
	;; [unrolled: 1-line block ×3, first 2 shown]
.LBB0_19:
	s_nop 0
	s_sendmsg sendmsg(MSG_DEALLOC_VGPRS)
	s_endpgm
	.section	.rodata,"a",@progbits
	.p2align	6, 0x0
	.amdhsa_kernel fft_rtc_back_len176_factors_11_16_wgs_64_tpt_16_halfLds_dp_op_CI_CI_unitstride_sbrr_dirReg
		.amdhsa_group_segment_fixed_size 0
		.amdhsa_private_segment_fixed_size 0
		.amdhsa_kernarg_size 104
		.amdhsa_user_sgpr_count 15
		.amdhsa_user_sgpr_dispatch_ptr 0
		.amdhsa_user_sgpr_queue_ptr 0
		.amdhsa_user_sgpr_kernarg_segment_ptr 1
		.amdhsa_user_sgpr_dispatch_id 0
		.amdhsa_user_sgpr_private_segment_size 0
		.amdhsa_wavefront_size32 1
		.amdhsa_uses_dynamic_stack 0
		.amdhsa_enable_private_segment 0
		.amdhsa_system_sgpr_workgroup_id_x 1
		.amdhsa_system_sgpr_workgroup_id_y 0
		.amdhsa_system_sgpr_workgroup_id_z 0
		.amdhsa_system_sgpr_workgroup_info 0
		.amdhsa_system_vgpr_workitem_id 0
		.amdhsa_next_free_vgpr 137
		.amdhsa_next_free_sgpr 38
		.amdhsa_reserve_vcc 1
		.amdhsa_float_round_mode_32 0
		.amdhsa_float_round_mode_16_64 0
		.amdhsa_float_denorm_mode_32 3
		.amdhsa_float_denorm_mode_16_64 3
		.amdhsa_dx10_clamp 1
		.amdhsa_ieee_mode 1
		.amdhsa_fp16_overflow 0
		.amdhsa_workgroup_processor_mode 1
		.amdhsa_memory_ordered 1
		.amdhsa_forward_progress 0
		.amdhsa_shared_vgpr_count 0
		.amdhsa_exception_fp_ieee_invalid_op 0
		.amdhsa_exception_fp_denorm_src 0
		.amdhsa_exception_fp_ieee_div_zero 0
		.amdhsa_exception_fp_ieee_overflow 0
		.amdhsa_exception_fp_ieee_underflow 0
		.amdhsa_exception_fp_ieee_inexact 0
		.amdhsa_exception_int_div_zero 0
	.end_amdhsa_kernel
	.text
.Lfunc_end0:
	.size	fft_rtc_back_len176_factors_11_16_wgs_64_tpt_16_halfLds_dp_op_CI_CI_unitstride_sbrr_dirReg, .Lfunc_end0-fft_rtc_back_len176_factors_11_16_wgs_64_tpt_16_halfLds_dp_op_CI_CI_unitstride_sbrr_dirReg
                                        ; -- End function
	.section	.AMDGPU.csdata,"",@progbits
; Kernel info:
; codeLenInByte = 6904
; NumSgprs: 40
; NumVgprs: 137
; ScratchSize: 0
; MemoryBound: 1
; FloatMode: 240
; IeeeMode: 1
; LDSByteSize: 0 bytes/workgroup (compile time only)
; SGPRBlocks: 4
; VGPRBlocks: 17
; NumSGPRsForWavesPerEU: 40
; NumVGPRsForWavesPerEU: 137
; Occupancy: 10
; WaveLimiterHint : 1
; COMPUTE_PGM_RSRC2:SCRATCH_EN: 0
; COMPUTE_PGM_RSRC2:USER_SGPR: 15
; COMPUTE_PGM_RSRC2:TRAP_HANDLER: 0
; COMPUTE_PGM_RSRC2:TGID_X_EN: 1
; COMPUTE_PGM_RSRC2:TGID_Y_EN: 0
; COMPUTE_PGM_RSRC2:TGID_Z_EN: 0
; COMPUTE_PGM_RSRC2:TIDIG_COMP_CNT: 0
	.text
	.p2alignl 7, 3214868480
	.fill 96, 4, 3214868480
	.type	__hip_cuid_998ef971c6887ff3,@object ; @__hip_cuid_998ef971c6887ff3
	.section	.bss,"aw",@nobits
	.globl	__hip_cuid_998ef971c6887ff3
__hip_cuid_998ef971c6887ff3:
	.byte	0                               ; 0x0
	.size	__hip_cuid_998ef971c6887ff3, 1

	.ident	"AMD clang version 19.0.0git (https://github.com/RadeonOpenCompute/llvm-project roc-6.4.0 25133 c7fe45cf4b819c5991fe208aaa96edf142730f1d)"
	.section	".note.GNU-stack","",@progbits
	.addrsig
	.addrsig_sym __hip_cuid_998ef971c6887ff3
	.amdgpu_metadata
---
amdhsa.kernels:
  - .args:
      - .actual_access:  read_only
        .address_space:  global
        .offset:         0
        .size:           8
        .value_kind:     global_buffer
      - .offset:         8
        .size:           8
        .value_kind:     by_value
      - .actual_access:  read_only
        .address_space:  global
        .offset:         16
        .size:           8
        .value_kind:     global_buffer
      - .actual_access:  read_only
        .address_space:  global
        .offset:         24
        .size:           8
        .value_kind:     global_buffer
      - .actual_access:  read_only
        .address_space:  global
        .offset:         32
        .size:           8
        .value_kind:     global_buffer
      - .offset:         40
        .size:           8
        .value_kind:     by_value
      - .actual_access:  read_only
        .address_space:  global
        .offset:         48
        .size:           8
        .value_kind:     global_buffer
      - .actual_access:  read_only
        .address_space:  global
        .offset:         56
        .size:           8
        .value_kind:     global_buffer
      - .offset:         64
        .size:           4
        .value_kind:     by_value
      - .actual_access:  read_only
        .address_space:  global
        .offset:         72
        .size:           8
        .value_kind:     global_buffer
      - .actual_access:  read_only
        .address_space:  global
        .offset:         80
        .size:           8
        .value_kind:     global_buffer
      - .actual_access:  read_only
        .address_space:  global
        .offset:         88
        .size:           8
        .value_kind:     global_buffer
      - .actual_access:  write_only
        .address_space:  global
        .offset:         96
        .size:           8
        .value_kind:     global_buffer
    .group_segment_fixed_size: 0
    .kernarg_segment_align: 8
    .kernarg_segment_size: 104
    .language:       OpenCL C
    .language_version:
      - 2
      - 0
    .max_flat_workgroup_size: 64
    .name:           fft_rtc_back_len176_factors_11_16_wgs_64_tpt_16_halfLds_dp_op_CI_CI_unitstride_sbrr_dirReg
    .private_segment_fixed_size: 0
    .sgpr_count:     40
    .sgpr_spill_count: 0
    .symbol:         fft_rtc_back_len176_factors_11_16_wgs_64_tpt_16_halfLds_dp_op_CI_CI_unitstride_sbrr_dirReg.kd
    .uniform_work_group_size: 1
    .uses_dynamic_stack: false
    .vgpr_count:     137
    .vgpr_spill_count: 0
    .wavefront_size: 32
    .workgroup_processor_mode: 1
amdhsa.target:   amdgcn-amd-amdhsa--gfx1100
amdhsa.version:
  - 1
  - 2
...

	.end_amdgpu_metadata
